;; amdgpu-corpus repo=ROCm/rocFFT kind=compiled arch=gfx1201 opt=O3
	.text
	.amdgcn_target "amdgcn-amd-amdhsa--gfx1201"
	.amdhsa_code_object_version 6
	.protected	fft_rtc_fwd_len1820_factors_10_13_7_2_wgs_182_tpt_182_halfLds_half_ip_CI_unitstride_sbrr_R2C_dirReg ; -- Begin function fft_rtc_fwd_len1820_factors_10_13_7_2_wgs_182_tpt_182_halfLds_half_ip_CI_unitstride_sbrr_R2C_dirReg
	.globl	fft_rtc_fwd_len1820_factors_10_13_7_2_wgs_182_tpt_182_halfLds_half_ip_CI_unitstride_sbrr_R2C_dirReg
	.p2align	8
	.type	fft_rtc_fwd_len1820_factors_10_13_7_2_wgs_182_tpt_182_halfLds_half_ip_CI_unitstride_sbrr_R2C_dirReg,@function
fft_rtc_fwd_len1820_factors_10_13_7_2_wgs_182_tpt_182_halfLds_half_ip_CI_unitstride_sbrr_R2C_dirReg: ; @fft_rtc_fwd_len1820_factors_10_13_7_2_wgs_182_tpt_182_halfLds_half_ip_CI_unitstride_sbrr_R2C_dirReg
; %bb.0:
	s_clause 0x2
	s_load_b128 s[4:7], s[0:1], 0x0
	s_load_b64 s[8:9], s[0:1], 0x50
	s_load_b64 s[10:11], s[0:1], 0x18
	v_mul_u32_u24_e32 v1, 0x169, v0
	v_mov_b32_e32 v3, 0
	s_delay_alu instid0(VALU_DEP_2) | instskip(NEXT) | instid1(VALU_DEP_1)
	v_lshrrev_b32_e32 v1, 16, v1
	v_add_nc_u32_e32 v5, ttmp9, v1
	v_mov_b32_e32 v1, 0
	v_mov_b32_e32 v2, 0
	;; [unrolled: 1-line block ×3, first 2 shown]
	s_wait_kmcnt 0x0
	v_cmp_lt_u64_e64 s2, s[6:7], 2
	s_delay_alu instid0(VALU_DEP_1)
	s_and_b32 vcc_lo, exec_lo, s2
	s_cbranch_vccnz .LBB0_8
; %bb.1:
	s_load_b64 s[2:3], s[0:1], 0x10
	v_mov_b32_e32 v1, 0
	v_mov_b32_e32 v2, 0
	s_add_nc_u64 s[12:13], s[10:11], 8
	s_mov_b64 s[14:15], 1
	s_wait_kmcnt 0x0
	s_add_nc_u64 s[16:17], s[2:3], 8
	s_mov_b32 s3, 0
.LBB0_2:                                ; =>This Inner Loop Header: Depth=1
	s_load_b64 s[18:19], s[16:17], 0x0
                                        ; implicit-def: $vgpr7_vgpr8
	s_mov_b32 s2, exec_lo
	s_wait_kmcnt 0x0
	v_or_b32_e32 v4, s19, v6
	s_delay_alu instid0(VALU_DEP_1)
	v_cmpx_ne_u64_e32 0, v[3:4]
	s_wait_alu 0xfffe
	s_xor_b32 s20, exec_lo, s2
	s_cbranch_execz .LBB0_4
; %bb.3:                                ;   in Loop: Header=BB0_2 Depth=1
	s_cvt_f32_u32 s2, s18
	s_cvt_f32_u32 s21, s19
	s_sub_nc_u64 s[24:25], 0, s[18:19]
	s_wait_alu 0xfffe
	s_delay_alu instid0(SALU_CYCLE_1) | instskip(SKIP_1) | instid1(SALU_CYCLE_2)
	s_fmamk_f32 s2, s21, 0x4f800000, s2
	s_wait_alu 0xfffe
	v_s_rcp_f32 s2, s2
	s_delay_alu instid0(TRANS32_DEP_1) | instskip(SKIP_1) | instid1(SALU_CYCLE_2)
	s_mul_f32 s2, s2, 0x5f7ffffc
	s_wait_alu 0xfffe
	s_mul_f32 s21, s2, 0x2f800000
	s_wait_alu 0xfffe
	s_delay_alu instid0(SALU_CYCLE_2) | instskip(SKIP_1) | instid1(SALU_CYCLE_2)
	s_trunc_f32 s21, s21
	s_wait_alu 0xfffe
	s_fmamk_f32 s2, s21, 0xcf800000, s2
	s_cvt_u32_f32 s23, s21
	s_wait_alu 0xfffe
	s_delay_alu instid0(SALU_CYCLE_1) | instskip(SKIP_1) | instid1(SALU_CYCLE_2)
	s_cvt_u32_f32 s22, s2
	s_wait_alu 0xfffe
	s_mul_u64 s[26:27], s[24:25], s[22:23]
	s_wait_alu 0xfffe
	s_mul_hi_u32 s29, s22, s27
	s_mul_i32 s28, s22, s27
	s_mul_hi_u32 s2, s22, s26
	s_mul_i32 s30, s23, s26
	s_wait_alu 0xfffe
	s_add_nc_u64 s[28:29], s[2:3], s[28:29]
	s_mul_hi_u32 s21, s23, s26
	s_mul_hi_u32 s31, s23, s27
	s_add_co_u32 s2, s28, s30
	s_wait_alu 0xfffe
	s_add_co_ci_u32 s2, s29, s21
	s_mul_i32 s26, s23, s27
	s_add_co_ci_u32 s27, s31, 0
	s_wait_alu 0xfffe
	s_add_nc_u64 s[26:27], s[2:3], s[26:27]
	s_wait_alu 0xfffe
	v_add_co_u32 v4, s2, s22, s26
	s_delay_alu instid0(VALU_DEP_1) | instskip(SKIP_1) | instid1(VALU_DEP_1)
	s_cmp_lg_u32 s2, 0
	s_add_co_ci_u32 s23, s23, s27
	v_readfirstlane_b32 s22, v4
	s_wait_alu 0xfffe
	s_delay_alu instid0(VALU_DEP_1)
	s_mul_u64 s[24:25], s[24:25], s[22:23]
	s_wait_alu 0xfffe
	s_mul_hi_u32 s27, s22, s25
	s_mul_i32 s26, s22, s25
	s_mul_hi_u32 s2, s22, s24
	s_mul_i32 s28, s23, s24
	s_wait_alu 0xfffe
	s_add_nc_u64 s[26:27], s[2:3], s[26:27]
	s_mul_hi_u32 s21, s23, s24
	s_mul_hi_u32 s22, s23, s25
	s_wait_alu 0xfffe
	s_add_co_u32 s2, s26, s28
	s_add_co_ci_u32 s2, s27, s21
	s_mul_i32 s24, s23, s25
	s_add_co_ci_u32 s25, s22, 0
	s_wait_alu 0xfffe
	s_add_nc_u64 s[24:25], s[2:3], s[24:25]
	s_wait_alu 0xfffe
	v_add_co_u32 v4, s2, v4, s24
	s_delay_alu instid0(VALU_DEP_1) | instskip(SKIP_1) | instid1(VALU_DEP_1)
	s_cmp_lg_u32 s2, 0
	s_add_co_ci_u32 s2, s23, s25
	v_mul_hi_u32 v13, v5, v4
	s_wait_alu 0xfffe
	v_mad_co_u64_u32 v[7:8], null, v5, s2, 0
	v_mad_co_u64_u32 v[9:10], null, v6, v4, 0
	;; [unrolled: 1-line block ×3, first 2 shown]
	s_delay_alu instid0(VALU_DEP_3) | instskip(SKIP_1) | instid1(VALU_DEP_4)
	v_add_co_u32 v4, vcc_lo, v13, v7
	s_wait_alu 0xfffd
	v_add_co_ci_u32_e32 v7, vcc_lo, 0, v8, vcc_lo
	s_delay_alu instid0(VALU_DEP_2) | instskip(SKIP_1) | instid1(VALU_DEP_2)
	v_add_co_u32 v4, vcc_lo, v4, v9
	s_wait_alu 0xfffd
	v_add_co_ci_u32_e32 v4, vcc_lo, v7, v10, vcc_lo
	s_wait_alu 0xfffd
	v_add_co_ci_u32_e32 v7, vcc_lo, 0, v12, vcc_lo
	s_delay_alu instid0(VALU_DEP_2) | instskip(SKIP_1) | instid1(VALU_DEP_2)
	v_add_co_u32 v4, vcc_lo, v4, v11
	s_wait_alu 0xfffd
	v_add_co_ci_u32_e32 v9, vcc_lo, 0, v7, vcc_lo
	s_delay_alu instid0(VALU_DEP_2) | instskip(SKIP_1) | instid1(VALU_DEP_3)
	v_mul_lo_u32 v10, s19, v4
	v_mad_co_u64_u32 v[7:8], null, s18, v4, 0
	v_mul_lo_u32 v11, s18, v9
	s_delay_alu instid0(VALU_DEP_2) | instskip(NEXT) | instid1(VALU_DEP_2)
	v_sub_co_u32 v7, vcc_lo, v5, v7
	v_add3_u32 v8, v8, v11, v10
	s_delay_alu instid0(VALU_DEP_1) | instskip(SKIP_1) | instid1(VALU_DEP_1)
	v_sub_nc_u32_e32 v10, v6, v8
	s_wait_alu 0xfffd
	v_subrev_co_ci_u32_e64 v10, s2, s19, v10, vcc_lo
	v_add_co_u32 v11, s2, v4, 2
	s_wait_alu 0xf1ff
	v_add_co_ci_u32_e64 v12, s2, 0, v9, s2
	v_sub_co_u32 v13, s2, v7, s18
	v_sub_co_ci_u32_e32 v8, vcc_lo, v6, v8, vcc_lo
	s_wait_alu 0xf1ff
	v_subrev_co_ci_u32_e64 v10, s2, 0, v10, s2
	s_delay_alu instid0(VALU_DEP_3) | instskip(NEXT) | instid1(VALU_DEP_3)
	v_cmp_le_u32_e32 vcc_lo, s18, v13
	v_cmp_eq_u32_e64 s2, s19, v8
	s_wait_alu 0xfffd
	v_cndmask_b32_e64 v13, 0, -1, vcc_lo
	v_cmp_le_u32_e32 vcc_lo, s19, v10
	s_wait_alu 0xfffd
	v_cndmask_b32_e64 v14, 0, -1, vcc_lo
	v_cmp_le_u32_e32 vcc_lo, s18, v7
	;; [unrolled: 3-line block ×3, first 2 shown]
	s_wait_alu 0xfffd
	v_cndmask_b32_e64 v15, 0, -1, vcc_lo
	v_cmp_eq_u32_e32 vcc_lo, s19, v10
	s_wait_alu 0xf1ff
	s_delay_alu instid0(VALU_DEP_2)
	v_cndmask_b32_e64 v7, v15, v7, s2
	s_wait_alu 0xfffd
	v_cndmask_b32_e32 v10, v14, v13, vcc_lo
	v_add_co_u32 v13, vcc_lo, v4, 1
	s_wait_alu 0xfffd
	v_add_co_ci_u32_e32 v14, vcc_lo, 0, v9, vcc_lo
	s_delay_alu instid0(VALU_DEP_3) | instskip(SKIP_2) | instid1(VALU_DEP_3)
	v_cmp_ne_u32_e32 vcc_lo, 0, v10
	s_wait_alu 0xfffd
	v_cndmask_b32_e32 v10, v13, v11, vcc_lo
	v_cndmask_b32_e32 v8, v14, v12, vcc_lo
	v_cmp_ne_u32_e32 vcc_lo, 0, v7
	s_wait_alu 0xfffd
	s_delay_alu instid0(VALU_DEP_2)
	v_dual_cndmask_b32 v7, v4, v10 :: v_dual_cndmask_b32 v8, v9, v8
.LBB0_4:                                ;   in Loop: Header=BB0_2 Depth=1
	s_wait_alu 0xfffe
	s_and_not1_saveexec_b32 s2, s20
	s_cbranch_execz .LBB0_6
; %bb.5:                                ;   in Loop: Header=BB0_2 Depth=1
	v_cvt_f32_u32_e32 v4, s18
	s_sub_co_i32 s20, 0, s18
	s_delay_alu instid0(VALU_DEP_1) | instskip(NEXT) | instid1(TRANS32_DEP_1)
	v_rcp_iflag_f32_e32 v4, v4
	v_mul_f32_e32 v4, 0x4f7ffffe, v4
	s_delay_alu instid0(VALU_DEP_1) | instskip(SKIP_1) | instid1(VALU_DEP_1)
	v_cvt_u32_f32_e32 v4, v4
	s_wait_alu 0xfffe
	v_mul_lo_u32 v7, s20, v4
	s_delay_alu instid0(VALU_DEP_1) | instskip(NEXT) | instid1(VALU_DEP_1)
	v_mul_hi_u32 v7, v4, v7
	v_add_nc_u32_e32 v4, v4, v7
	s_delay_alu instid0(VALU_DEP_1) | instskip(NEXT) | instid1(VALU_DEP_1)
	v_mul_hi_u32 v4, v5, v4
	v_mul_lo_u32 v7, v4, s18
	v_add_nc_u32_e32 v8, 1, v4
	s_delay_alu instid0(VALU_DEP_2) | instskip(NEXT) | instid1(VALU_DEP_1)
	v_sub_nc_u32_e32 v7, v5, v7
	v_subrev_nc_u32_e32 v9, s18, v7
	v_cmp_le_u32_e32 vcc_lo, s18, v7
	s_wait_alu 0xfffd
	s_delay_alu instid0(VALU_DEP_2) | instskip(NEXT) | instid1(VALU_DEP_1)
	v_dual_cndmask_b32 v7, v7, v9 :: v_dual_cndmask_b32 v4, v4, v8
	v_cmp_le_u32_e32 vcc_lo, s18, v7
	s_delay_alu instid0(VALU_DEP_2) | instskip(SKIP_1) | instid1(VALU_DEP_1)
	v_add_nc_u32_e32 v8, 1, v4
	s_wait_alu 0xfffd
	v_dual_cndmask_b32 v7, v4, v8 :: v_dual_mov_b32 v8, v3
.LBB0_6:                                ;   in Loop: Header=BB0_2 Depth=1
	s_wait_alu 0xfffe
	s_or_b32 exec_lo, exec_lo, s2
	s_load_b64 s[20:21], s[12:13], 0x0
	s_delay_alu instid0(VALU_DEP_1)
	v_mul_lo_u32 v4, v8, s18
	v_mul_lo_u32 v11, v7, s19
	v_mad_co_u64_u32 v[9:10], null, v7, s18, 0
	s_add_nc_u64 s[14:15], s[14:15], 1
	s_add_nc_u64 s[12:13], s[12:13], 8
	s_wait_alu 0xfffe
	v_cmp_ge_u64_e64 s2, s[14:15], s[6:7]
	s_add_nc_u64 s[16:17], s[16:17], 8
	s_delay_alu instid0(VALU_DEP_2) | instskip(NEXT) | instid1(VALU_DEP_3)
	v_add3_u32 v4, v10, v11, v4
	v_sub_co_u32 v5, vcc_lo, v5, v9
	s_wait_alu 0xfffd
	s_delay_alu instid0(VALU_DEP_2) | instskip(SKIP_3) | instid1(VALU_DEP_2)
	v_sub_co_ci_u32_e32 v4, vcc_lo, v6, v4, vcc_lo
	s_and_b32 vcc_lo, exec_lo, s2
	s_wait_kmcnt 0x0
	v_mul_lo_u32 v6, s21, v5
	v_mul_lo_u32 v4, s20, v4
	v_mad_co_u64_u32 v[1:2], null, s20, v5, v[1:2]
	s_delay_alu instid0(VALU_DEP_1)
	v_add3_u32 v2, v6, v2, v4
	s_wait_alu 0xfffe
	s_cbranch_vccnz .LBB0_9
; %bb.7:                                ;   in Loop: Header=BB0_2 Depth=1
	v_dual_mov_b32 v5, v7 :: v_dual_mov_b32 v6, v8
	s_branch .LBB0_2
.LBB0_8:
	v_dual_mov_b32 v8, v6 :: v_dual_mov_b32 v7, v5
.LBB0_9:
	s_lshl_b64 s[2:3], s[6:7], 3
	v_mul_hi_u32 v3, 0x1681682, v0
	s_wait_alu 0xfffe
	s_add_nc_u64 s[2:3], s[10:11], s[2:3]
	s_load_b64 s[2:3], s[2:3], 0x0
	s_load_b64 s[0:1], s[0:1], 0x20
	s_delay_alu instid0(VALU_DEP_1) | instskip(NEXT) | instid1(VALU_DEP_1)
	v_mul_u32_u24_e32 v3, 0xb6, v3
	v_sub_nc_u32_e32 v0, v0, v3
	s_delay_alu instid0(VALU_DEP_1)
	v_lshl_add_u32 v16, v0, 2, 0
	s_wait_kmcnt 0x0
	v_mul_lo_u32 v4, s2, v8
	v_mul_lo_u32 v5, s3, v7
	v_mad_co_u64_u32 v[1:2], null, s2, v7, v[1:2]
	v_cmp_gt_u64_e32 vcc_lo, s[0:1], v[7:8]
	s_delay_alu instid0(VALU_DEP_2) | instskip(NEXT) | instid1(VALU_DEP_1)
	v_add3_u32 v2, v5, v2, v4
	v_lshlrev_b64_e32 v[2:3], 2, v[1:2]
	s_and_saveexec_b32 s1, vcc_lo
	s_cbranch_execz .LBB0_11
; %bb.10:
	v_dual_mov_b32 v1, 0 :: v_dual_add_nc_u32 v14, 0xb00, v16
	v_add_nc_u32_e32 v15, 0x1000, v16
	v_add_nc_u32_e32 v17, 0x1600, v16
	s_delay_alu instid0(VALU_DEP_3) | instskip(SKIP_3) | instid1(VALU_DEP_2)
	v_lshlrev_b64_e32 v[4:5], 2, v[0:1]
	v_add_co_u32 v1, s0, s8, v2
	s_wait_alu 0xf1ff
	v_add_co_ci_u32_e64 v6, s0, s9, v3, s0
	v_add_co_u32 v4, s0, v1, v4
	s_wait_alu 0xf1ff
	s_delay_alu instid0(VALU_DEP_2)
	v_add_co_ci_u32_e64 v5, s0, v6, v5, s0
	s_clause 0x9
	global_load_b32 v1, v[4:5], off
	global_load_b32 v6, v[4:5], off offset:728
	global_load_b32 v7, v[4:5], off offset:1456
	;; [unrolled: 1-line block ×9, first 2 shown]
	v_add_nc_u32_e32 v5, 0x500, v16
	s_wait_loadcnt 0x8
	ds_store_2addr_b32 v16, v1, v6 offset1:182
	s_wait_loadcnt 0x6
	ds_store_2addr_b32 v5, v7, v8 offset0:44 offset1:226
	s_wait_loadcnt 0x4
	ds_store_2addr_b32 v14, v9, v10 offset0:24 offset1:206
	;; [unrolled: 2-line block ×4, first 2 shown]
.LBB0_11:
	s_wait_alu 0xfffe
	s_or_b32 exec_lo, exec_lo, s1
	v_add_nc_u32_e32 v6, 0xb00, v16
	v_add_nc_u32_e32 v1, 0x1000, v16
	;; [unrolled: 1-line block ×4, first 2 shown]
	global_wb scope:SCOPE_SE
	s_wait_dscnt 0x0
	s_barrier_signal -1
	s_barrier_wait -1
	global_inv scope:SCOPE_SE
	ds_load_2addr_b32 v[4:5], v16 offset1:182
	ds_load_2addr_b32 v[6:7], v6 offset0:24 offset1:206
	ds_load_2addr_b32 v[8:9], v1 offset0:68 offset1:250
	;; [unrolled: 1-line block ×4, first 2 shown]
	v_cmp_gt_u32_e64 s0, 0x8c, v0
	global_wb scope:SCOPE_SE
	s_wait_dscnt 0x0
	s_barrier_signal -1
	s_barrier_wait -1
	global_inv scope:SCOPE_SE
                                        ; implicit-def: $vgpr43
                                        ; implicit-def: $vgpr44
                                        ; implicit-def: $vgpr42
                                        ; implicit-def: $vgpr46
	v_lshrrev_b32_e32 v14, 16, v4
	v_lshrrev_b32_e32 v19, 16, v6
	v_add_f16_e32 v15, v6, v8
	v_lshrrev_b32_e32 v17, 16, v10
	v_lshrrev_b32_e32 v18, 16, v12
	;; [unrolled: 1-line block ×3, first 2 shown]
	v_sub_f16_e32 v21, v12, v8
	v_sub_f16_e32 v22, v10, v6
	v_add_f16_e32 v23, v10, v12
	v_sub_f16_e32 v24, v8, v12
	v_sub_f16_e32 v25, v6, v10
	v_pk_add_f16 v26, v4, v10
	v_fma_f16 v15, -0.5, v15, v4
	v_sub_f16_e32 v27, v17, v18
	v_sub_f16_e32 v28, v19, v20
	v_add_f16_e32 v21, v22, v21
	v_fma_f16 v22, -0.5, v23, v4
	v_add_f16_e32 v4, v25, v24
	v_pk_add_f16 v23, v26, v6
	v_fmamk_f16 v24, v27, 0x3b9c, v15
	v_fmac_f16_e32 v15, 0xbb9c, v27
	v_add_f16_e32 v26, v19, v20
	v_sub_f16_e32 v10, v10, v12
	v_fmamk_f16 v25, v28, 0xbb9c, v22
	v_fmac_f16_e32 v22, 0x3b9c, v28
	v_fmac_f16_e32 v24, 0x38b4, v28
	;; [unrolled: 1-line block ×3, first 2 shown]
	v_fma_f16 v26, -0.5, v26, v14
	v_fmac_f16_e32 v25, 0x38b4, v27
	v_fmac_f16_e32 v22, 0xb8b4, v27
	;; [unrolled: 1-line block ×4, first 2 shown]
	v_fmamk_f16 v21, v10, 0xbb9c, v26
	v_sub_f16_e32 v6, v6, v8
	v_sub_f16_e32 v27, v17, v19
	;; [unrolled: 1-line block ×3, first 2 shown]
	v_fmac_f16_e32 v26, 0x3b9c, v10
	v_pk_add_f16 v8, v23, v8
	v_fmac_f16_e32 v25, 0x34f2, v4
	v_add_f16_e32 v29, v17, v18
	v_fmac_f16_e32 v21, 0xb8b4, v6
	v_add_f16_e32 v23, v27, v28
	v_fmac_f16_e32 v26, 0x38b4, v6
	v_fmac_f16_e32 v22, 0x34f2, v4
	v_pk_add_f16 v27, v8, v12
	v_add_f16_e32 v4, v7, v9
	v_lshrrev_b32_e32 v8, 16, v11
	v_lshrrev_b32_e32 v12, 16, v13
	v_fmac_f16_e32 v14, -0.5, v29
	v_fmac_f16_e32 v21, 0x34f2, v23
	v_fmac_f16_e32 v26, 0x34f2, v23
	v_sub_f16_e32 v17, v19, v17
	v_sub_f16_e32 v18, v20, v18
	v_fma_f16 v4, -0.5, v4, v5
	v_sub_f16_e32 v19, v8, v12
	v_lshrrev_b32_e32 v20, 16, v7
	v_lshrrev_b32_e32 v23, 16, v9
	v_fmamk_f16 v28, v6, 0x3b9c, v14
	v_add_f16_e32 v17, v17, v18
	v_fmac_f16_e32 v14, 0xbb9c, v6
	v_fmamk_f16 v18, v19, 0x3b9c, v4
	v_add_f16_e32 v6, v11, v13
	v_sub_f16_e32 v29, v20, v23
	v_sub_f16_e32 v30, v13, v9
	;; [unrolled: 1-line block ×3, first 2 shown]
	v_fmac_f16_e32 v4, 0xbb9c, v19
	v_fmac_f16_e32 v28, 0xb8b4, v10
	v_fma_f16 v32, -0.5, v6, v5
	v_fmac_f16_e32 v14, 0x38b4, v10
	v_fmac_f16_e32 v18, 0x38b4, v29
	v_add_f16_e32 v6, v31, v30
	v_sub_f16_e32 v30, v9, v13
	v_sub_f16_e32 v31, v7, v11
	v_fmac_f16_e32 v4, 0xb8b4, v29
	v_fmac_f16_e32 v28, 0x34f2, v17
	v_fmamk_f16 v10, v29, 0xbb9c, v32
	v_fmac_f16_e32 v14, 0x34f2, v17
	v_fmac_f16_e32 v18, 0x34f2, v6
	v_add_f16_e32 v17, v31, v30
	v_fmac_f16_e32 v32, 0x3b9c, v29
	v_add_f16_e32 v29, v20, v23
	v_lshrrev_b32_e32 v30, 16, v5
	v_fmac_f16_e32 v4, 0x34f2, v6
	v_add_f16_e32 v6, v8, v12
	v_fmac_f16_e32 v10, 0x38b4, v19
	v_fmac_f16_e32 v32, 0xb8b4, v19
	v_fma_f16 v19, -0.5, v29, v30
	v_sub_f16_e32 v29, v11, v13
	v_sub_f16_e32 v31, v7, v9
	v_fmac_f16_e32 v30, -0.5, v6
	v_fmac_f16_e32 v10, 0x34f2, v17
	v_fmac_f16_e32 v32, 0x34f2, v17
	v_pk_add_f16 v5, v5, v11
	v_fmamk_f16 v11, v29, 0xbb9c, v19
	v_sub_f16_e32 v6, v8, v20
	v_fmamk_f16 v17, v31, 0x3b9c, v30
	v_sub_f16_e32 v8, v20, v8
	v_sub_f16_e32 v20, v23, v12
	;; [unrolled: 1-line block ×3, first 2 shown]
	v_fmac_f16_e32 v30, 0xbb9c, v31
	v_fmac_f16_e32 v19, 0x3b9c, v29
	;; [unrolled: 1-line block ×3, first 2 shown]
	v_add_f16_e32 v8, v8, v20
	v_add_f16_e32 v6, v6, v12
	v_fmac_f16_e32 v30, 0x38b4, v29
	v_fmac_f16_e32 v19, 0x38b4, v31
	v_pk_add_f16 v5, v5, v7
	v_fmac_f16_e32 v11, 0xb8b4, v31
	v_mul_f16_e32 v12, 0x3a79, v4
	v_fmac_f16_e32 v30, 0x34f2, v8
	v_fmac_f16_e32 v19, 0x34f2, v6
	;; [unrolled: 1-line block ×3, first 2 shown]
	v_pk_add_f16 v5, v5, v9
	v_fmac_f16_e32 v11, 0x34f2, v6
	v_mul_f16_e32 v8, 0x3a79, v18
	v_fma_f16 v29, v19, 0x38b4, -v12
	v_mul_f16_e32 v18, 0xb8b4, v18
	v_mul_f16_e32 v12, 0x34f2, v30
	;; [unrolled: 1-line block ×5, first 2 shown]
	v_pk_add_f16 v23, v5, v13
	v_mul_f16_e32 v13, 0x3a79, v19
	v_fmac_f16_e32 v8, 0x38b4, v11
	v_fmac_f16_e32 v18, 0x3a79, v11
	v_fma_f16 v11, v32, 0xbb9c, -v12
	v_fmac_f16_e32 v20, 0x34f2, v10
	v_fma_f16 v9, v30, 0x3b9c, -v7
	;; [unrolled: 2-line block ×3, first 2 shown]
	v_add_f16_e32 v5, v24, v8
	v_add_f16_e32 v31, v21, v18
	;; [unrolled: 1-line block ×3, first 2 shown]
	v_sub_f16_e32 v36, v14, v11
	v_pk_add_f16 v11, v27, v23 neg_lo:[0,1] neg_hi:[0,1]
	v_add_f16_e32 v6, v25, v20
	v_add_f16_e32 v7, v22, v9
	;; [unrolled: 1-line block ×5, first 2 shown]
	v_sub_f16_e32 v12, v24, v8
	v_sub_f16_e32 v13, v25, v20
	;; [unrolled: 1-line block ×7, first 2 shown]
	v_pk_add_f16 v4, v27, v23
	v_mad_u32_u24 v14, v0, 36, v16
	v_pack_b32_f16 v15, v5, v31
	v_lshrrev_b32_e32 v45, 16, v11
	v_pack_b32_f16 v17, v7, v38
	v_pack_b32_f16 v18, v6, v32
	;; [unrolled: 1-line block ×7, first 2 shown]
	ds_store_2addr_b32 v14, v4, v15 offset1:1
	ds_store_2addr_b32 v14, v18, v17 offset0:2 offset1:3
	ds_store_2addr_b32 v14, v19, v11 offset0:4 offset1:5
	;; [unrolled: 1-line block ×4, first 2 shown]
	global_wb scope:SCOPE_SE
	s_wait_dscnt 0x0
	s_barrier_signal -1
	s_barrier_wait -1
	global_inv scope:SCOPE_SE
                                        ; implicit-def: $vgpr15
	s_and_saveexec_b32 s1, s0
	s_cbranch_execz .LBB0_13
; %bb.12:
	v_add_nc_u32_e32 v6, 0x1500, v16
	ds_load_2addr_b32 v[8:9], v1 offset0:96 offset1:236
	v_add_nc_u32_e32 v1, 0x400, v16
	v_add_nc_u32_e32 v10, 0x800, v16
	v_add_nc_u32_e32 v12, 0xc00, v16
	ds_load_2addr_b32 v[4:5], v16 offset1:140
	ds_load_b32 v42, v16 offset:6720
	ds_load_2addr_b32 v[14:15], v6 offset0:56 offset1:196
	ds_load_2addr_b32 v[6:7], v1 offset0:24 offset1:164
	;; [unrolled: 1-line block ×4, first 2 shown]
	s_wait_dscnt 0x6
	v_lshrrev_b32_e32 v36, 16, v8
	v_lshrrev_b32_e32 v37, 16, v9
	s_wait_dscnt 0x5
	v_lshrrev_b32_e32 v31, 16, v5
	s_wait_dscnt 0x4
	;; [unrolled: 2-line block ×3, first 2 shown]
	v_lshrrev_b32_e32 v46, 16, v14
	v_lshrrev_b32_e32 v43, 16, v15
	s_wait_dscnt 0x2
	v_lshrrev_b32_e32 v32, 16, v6
	v_lshrrev_b32_e32 v38, 16, v7
	s_wait_dscnt 0x1
	;; [unrolled: 3-line block ×3, first 2 shown]
	v_lshrrev_b32_e32 v40, 16, v12
	v_lshrrev_b32_e32 v41, 16, v13
.LBB0_13:
	s_wait_alu 0xfffe
	s_or_b32 exec_lo, exec_lo, s1
	v_and_b32_e32 v1, 0xff, v0
	v_lshrrev_b32_e32 v21, 16, v4
	s_delay_alu instid0(VALU_DEP_2) | instskip(NEXT) | instid1(VALU_DEP_1)
	v_mul_lo_u16 v1, 0xcd, v1
	v_lshrrev_b16 v17, 11, v1
	s_delay_alu instid0(VALU_DEP_1) | instskip(NEXT) | instid1(VALU_DEP_1)
	v_mul_lo_u16 v1, v17, 10
	v_sub_nc_u16 v1, v0, v1
	s_delay_alu instid0(VALU_DEP_1) | instskip(NEXT) | instid1(VALU_DEP_1)
	v_and_b32_e32 v1, 0xff, v1
	v_mul_u32_u24_e32 v18, 12, v1
	s_delay_alu instid0(VALU_DEP_1)
	v_lshlrev_b32_e32 v18, 2, v18
	s_clause 0x2
	global_load_b128 v[47:50], v18, s[4:5]
	global_load_b128 v[51:54], v18, s[4:5] offset:16
	global_load_b128 v[55:58], v18, s[4:5] offset:32
	global_wb scope:SCOPE_SE
	s_wait_loadcnt 0x0
	s_barrier_signal -1
	s_barrier_wait -1
	global_inv scope:SCOPE_SE
	v_lshrrev_b32_e32 v18, 16, v47
	v_lshrrev_b32_e32 v19, 16, v48
	;; [unrolled: 1-line block ×12, first 2 shown]
	v_mul_f16_e32 v62, v31, v18
	v_mul_f16_e32 v30, v5, v18
	;; [unrolled: 1-line block ×24, first 2 shown]
	v_fma_f16 v35, v5, v47, -v62
	v_fmac_f16_e32 v30, v31, v47
	v_fma_f16 v5, v42, v58, -v60
	v_fmac_f16_e32 v18, v44, v58
	;; [unrolled: 2-line block ×12, first 2 shown]
	v_sub_f16_e32 v9, v35, v5
	v_sub_f16_e32 v13, v30, v18
	v_add_f16_e32 v44, v35, v5
	v_add_f16_e32 v45, v30, v18
	v_sub_f16_e32 v14, v34, v6
	v_sub_f16_e32 v15, v29, v19
	v_sub_f16_e32 v36, v33, v7
	v_sub_f16_e32 v37, v28, v20
	v_sub_f16_e32 v38, v32, v8
	v_sub_f16_e32 v39, v27, v22
	v_sub_f16_e32 v40, v26, v23
	v_sub_f16_e32 v41, v31, v10
	v_sub_f16_e32 v42, v25, v24
	v_sub_f16_e32 v43, v12, v11
	v_mul_f16_e32 v54, 0xb770, v13
	v_mul_f16_e32 v56, 0xb770, v9
	;; [unrolled: 1-line block ×12, first 2 shown]
	v_add_f16_e32 v46, v34, v6
	v_add_f16_e32 v47, v29, v19
	v_mul_f16_e32 v55, 0xba95, v15
	v_mul_f16_e32 v59, 0xba95, v14
	;; [unrolled: 1-line block ×60, first 2 shown]
	v_fmamk_f16 v9, v44, 0x3b15, v54
	v_fma_f16 v13, v45, 0x3b15, -v56
	v_fmamk_f16 v14, v44, 0x388b, v69
	v_fma_f16 v15, v45, 0x388b, -v73
	;; [unrolled: 2-line block ×6, first 2 shown]
	v_add_f16_e32 v48, v33, v7
	v_add_f16_e32 v49, v28, v20
	v_fma_f16 v128, 0x388b, v46, v55
	v_fma_f16 v129, v47, 0x388b, -v59
	v_fma_f16 v130, 0xb5ac, v46, v71
	v_fma_f16 v131, v47, 0xb5ac, -v75
	;; [unrolled: 2-line block ×5, first 2 shown]
	v_fma_f16 v138, 0x3b15, v46, v113
	v_add_f16_e32 v9, v4, v9
	v_fma_f16 v139, v47, 0x3b15, -v123
	v_add_f16_e32 v13, v21, v13
	v_add_f16_e32 v14, v4, v14
	;; [unrolled: 1-line block ×13, first 2 shown]
	v_fma_f16 v140, 0x2fb7, v48, v57
	v_add_f16_e64 v9, v128, v9
	v_fma_f16 v128, v49, 0x2fb7, -v60
	v_add_f16_e64 v13, v129, v13
	v_fma_f16 v129, 0xbbc4, v48, v72
	v_add_f16_e64 v14, v130, v14
	v_fma_f16 v130, v49, 0xbbc4, -v74
	v_add_f16_e64 v15, v131, v15
	;; [unrolled: 4-line block ×6, first 2 shown]
	v_add_f16_e32 v52, v31, v10
	v_add_f16_e32 v53, v26, v23
	v_fma_f16 v139, 0xb5ac, v50, v58
	v_add_f16_e64 v9, v140, v9
	v_fma_f16 v140, v51, 0xb5ac, -v63
	v_add_f16_e64 v13, v128, v13
	v_fma_f16 v128, 0xb9fd, v50, v68
	v_add_f16_e64 v14, v129, v14
	v_fma_f16 v129, v51, 0xb9fd, -v76
	v_add_f16_e64 v15, v130, v15
	;; [unrolled: 4-line block ×6, first 2 shown]
	v_add_f16_e32 v86, v12, v11
	v_add_f16_e32 v90, v25, v24
	v_fma_f16 v138, 0xb9fd, v52, v61
	v_add_f16_e64 v9, v139, v9
	v_fma_f16 v139, v53, 0xb9fd, -v64
	v_add_f16_e64 v13, v140, v13
	v_fma_f16 v140, 0x2fb7, v52, v66
	v_add_f16_e64 v14, v128, v14
	v_fma_f16 v128, v53, 0x2fb7, -v77
	v_add_f16_e64 v15, v129, v15
	;; [unrolled: 4-line block ×12, first 2 shown]
	v_add_f16_e64 v15, v137, v9
	v_add_f16_e64 v38, v138, v13
	;; [unrolled: 1-line block ×12, first 2 shown]
	s_and_saveexec_b32 s1, s0
	s_cbranch_execz .LBB0_15
; %bb.14:
	v_mul_f16_e64 v128, 0xbbc4, v45
	v_mul_f16_e64 v129, 0x3b15, v44
	;; [unrolled: 1-line block ×5, first 2 shown]
	v_add_f16_e64 v122, v122, v128
	v_mul_f16_e64 v128, 0x3b15, v47
	v_mul_f16_e64 v137, 0xb9fd, v44
	v_mul_f16_e32 v44, 0xbbc4, v44
	v_mul_f16_e64 v140, 0xbbc4, v46
	v_add_f16_e32 v122, v21, v122
	v_add_f16_e64 v123, v123, v128
	v_mul_f16_e64 v128, 0xb9fd, v49
	v_sub_f16_e32 v44, v44, v117
	v_mul_f16_e64 v130, 0x3b15, v45
	v_mul_f16_e64 v132, 0x388b, v45
	v_add_f16_e32 v122, v123, v122
	v_add_f16_e64 v123, v124, v128
	v_mul_f16_e32 v124, 0x388b, v51
	v_mul_f16_e64 v128, 0x388b, v46
	v_mul_f16_e64 v134, 0x2fb7, v45
	;; [unrolled: 1-line block ×3, first 2 shown]
	v_add_f16_e32 v122, v123, v122
	v_add_f16_e32 v123, v125, v124
	v_mul_f16_e32 v124, 0xb5ac, v53
	v_mul_f16_e32 v125, 0xb5ac, v46
	;; [unrolled: 1-line block ×3, first 2 shown]
	v_add_f16_e32 v44, v4, v44
	v_add_f16_e32 v122, v123, v122
	v_add_f16_e32 v123, v126, v124
	v_mul_f16_e32 v126, 0xb9fd, v46
	v_mul_f16_e64 v138, 0x388b, v47
	v_mul_f16_e64 v139, 0xb5ac, v47
	v_mul_f16_e32 v124, 0xbbc4, v47
	v_add_f16_e32 v122, v123, v122
	v_mul_f16_e32 v123, 0x2fb7, v46
	v_mul_f16_e32 v46, 0x3b15, v46
	v_mul_f16_e64 v142, 0xb9fd, v47
	v_mul_f16_e32 v47, 0x2fb7, v47
	v_add_f16_e32 v45, v110, v45
	v_mul_f16_e64 v141, 0x2fb7, v90
	v_sub_f16_e32 v46, v46, v113
	v_mul_f16_e32 v113, 0xb9fd, v48
	v_add_f16_e32 v47, v111, v47
	v_add_f16_e32 v45, v21, v45
	v_add_f16_e64 v127, v127, v141
	v_add_f16_e32 v44, v46, v44
	v_mul_f16_e32 v46, 0x388b, v49
	v_sub_f16_e32 v113, v113, v115
	v_add_f16_e32 v45, v47, v45
	v_sub_f16_e64 v107, v137, v107
	v_mul_f16_e64 v141, 0x2fb7, v48
	v_add_f16_e32 v46, v112, v46
	v_mul_f16_e32 v112, 0x388b, v50
	v_add_f16_e32 v44, v113, v44
	v_mul_f16_e32 v113, 0xbbc4, v51
	v_add_f16_e32 v122, v127, v122
	v_add_f16_e32 v45, v46, v45
	v_sub_f16_e32 v112, v112, v118
	v_mul_f16_e32 v46, 0xb5ac, v52
	v_add_f16_e32 v113, v114, v113
	v_mul_f16_e32 v127, 0xbbc4, v48
	v_mul_f16_e32 v111, 0xb5ac, v48
	v_add_f16_e32 v44, v112, v44
	v_mul_f16_e32 v112, 0x3b15, v53
	v_add_f16_e32 v45, v113, v45
	v_mul_f16_e32 v47, 0x3b15, v48
	v_mul_f16_e32 v48, 0x388b, v48
	v_sub_f16_e32 v46, v46, v119
	v_add_f16_e32 v112, v116, v112
	v_sub_f16_e32 v108, v123, v108
	v_add_f16_e32 v107, v4, v107
	v_add_f16_e64 v98, v98, v136
	v_mul_f16_e32 v117, 0x2fb7, v49
	v_add_f16_e32 v45, v112, v45
	v_mul_f16_e32 v112, 0xb5ac, v90
	v_mul_f16_e32 v110, 0xbbc4, v49
	;; [unrolled: 1-line block ×7, first 2 shown]
	v_add_f16_e32 v44, v46, v44
	v_mul_f16_e32 v46, 0x3b15, v50
	v_mul_f16_e64 v137, 0x2fb7, v50
	v_mul_f16_e32 v50, 0xbbc4, v50
	v_add_f16_e32 v112, v120, v112
	v_add_f16_e32 v107, v108, v107
	v_add_f16_e64 v100, v100, v142
	v_add_f16_e32 v98, v21, v98
	v_sub_f16_e32 v48, v48, v104
	v_mul_f16_e32 v114, 0xb5ac, v51
	v_mul_f16_e32 v116, 0xb9fd, v51
	v_sub_f16_e32 v113, v113, v121
	v_mul_f16_e32 v121, 0x3b15, v51
	v_mul_f16_e32 v51, 0x2fb7, v51
	;; [unrolled: 1-line block ×3, first 2 shown]
	v_add_f16_e32 v45, v112, v45
	v_mul_f16_e32 v112, 0x2fb7, v52
	v_mul_f16_e32 v108, 0x388b, v52
	;; [unrolled: 1-line block ×4, first 2 shown]
	v_add_f16_e32 v98, v100, v98
	v_add_f16_e32 v49, v102, v49
	v_add_f16_e32 v48, v48, v107
	v_sub_f16_e32 v50, v50, v106
	v_sub_f16_e64 v91, v135, v91
	v_mul_f16_e32 v123, 0xb9fd, v53
	v_mul_f16_e64 v136, 0x2fb7, v53
	v_mul_f16_e64 v142, 0x388b, v53
	v_mul_f16_e32 v53, 0xbbc4, v53
	v_add_f16_e32 v49, v49, v98
	v_add_f16_e32 v51, v99, v51
	;; [unrolled: 1-line block ×3, first 2 shown]
	v_sub_f16_e32 v93, v126, v93
	v_add_f16_e32 v48, v50, v48
	v_sub_f16_e32 v50, v52, v103
	v_add_f16_e32 v49, v51, v49
	v_add_f16_e32 v51, v101, v53
	;; [unrolled: 1-line block ×3, first 2 shown]
	v_sub_f16_e32 v47, v47, v96
	v_add_f16_e32 v48, v50, v48
	v_add_f16_e64 v50, v84, v134
	v_add_f16_e32 v49, v51, v49
	v_sub_f16_e64 v51, v137, v95
	v_add_f16_e32 v47, v47, v52
	v_add_f16_e32 v52, v87, v124
	;; [unrolled: 1-line block ×3, first 2 shown]
	v_sub_f16_e64 v78, v133, v78
	v_sub_f16_e64 v80, v140, v80
	v_add_f16_e32 v47, v51, v47
	v_sub_f16_e32 v51, v104, v94
	v_add_f16_e32 v50, v52, v50
	v_add_f16_e32 v52, v85, v115
	;; [unrolled: 1-line block ×3, first 2 shown]
	v_add_f16_e64 v73, v73, v132
	v_add_f16_e32 v47, v51, v47
	v_add_f16_e32 v51, v89, v121
	;; [unrolled: 1-line block ×4, first 2 shown]
	v_sub_f16_e32 v78, v111, v82
	v_mul_f16_e64 v135, 0xb9fd, v90
	v_sub_f16_e32 v46, v46, v81
	v_add_f16_e32 v50, v51, v50
	v_add_f16_e64 v51, v88, v142
	v_add_f16_e32 v52, v78, v52
	v_add_f16_e32 v73, v21, v73
	v_add_f16_e64 v75, v75, v139
	v_sub_f16_e64 v69, v131, v69
	v_add_f16_e32 v50, v51, v50
	v_add_f16_e64 v51, v92, v135
	v_add_f16_e32 v46, v46, v52
	v_add_f16_e32 v52, v75, v73
	v_add_f16_e32 v73, v74, v110
	v_add_f16_e32 v69, v4, v69
	v_sub_f16_e32 v71, v125, v71
	v_add_f16_e32 v50, v51, v50
	v_add_f16_e32 v35, v4, v35
	;; [unrolled: 1-line block ×5, first 2 shown]
	v_sub_f16_e32 v71, v127, v72
	v_add_f16_e32 v30, v21, v30
	v_sub_f16_e32 v68, v119, v68
	v_add_f16_e32 v51, v52, v51
	v_add_f16_e64 v52, v77, v136
	v_add_f16_e32 v69, v71, v69
	v_add_f16_e32 v34, v35, v34
	v_add_f16_e32 v29, v30, v29
	v_sub_f16_e32 v30, v112, v66
	v_add_f16_e32 v51, v52, v51
	v_add_f16_e32 v52, v68, v69
	;; [unrolled: 1-line block ×4, first 2 shown]
	v_add_f16_e64 v34, v56, v130
	v_mul_f16_e32 v100, 0xbbc4, v86
	v_add_f16_e32 v29, v30, v52
	v_add_f16_e32 v30, v33, v32
	;; [unrolled: 1-line block ×4, first 2 shown]
	v_add_f16_e64 v32, v59, v138
	v_mul_f16_e32 v102, 0xbbc4, v90
	v_add_f16_e32 v30, v30, v31
	v_add_f16_e32 v26, v27, v26
	v_sub_f16_e64 v31, v129, v54
	v_add_f16_e32 v21, v32, v21
	v_add_f16_e32 v27, v60, v117
	v_add_f16_e32 v12, v30, v12
	v_add_f16_e32 v25, v26, v25
	v_add_f16_e32 v4, v4, v31
	v_sub_f16_e64 v30, v128, v55
	v_add_f16_e32 v21, v27, v21
	v_add_f16_e32 v11, v12, v11
	v_add_f16_e32 v12, v63, v114
	;; [unrolled: 6-line block ×3, first 2 shown]
	v_add_f16_e32 v21, v24, v23
	v_add_f16_e32 v4, v25, v4
	;; [unrolled: 1-line block ×3, first 2 shown]
	v_sub_f16_e32 v10, v118, v58
	v_add_f16_e32 v11, v12, v11
	v_add_f16_e32 v12, v21, v22
	v_mul_f16_e32 v107, 0x3b15, v86
	v_mul_f16_e32 v106, 0x3b15, v90
	;; [unrolled: 1-line block ×3, first 2 shown]
	v_sub_f16_e32 v74, v108, v79
	v_add_f16_e32 v7, v8, v7
	v_add_f16_e32 v4, v10, v4
	v_sub_f16_e32 v8, v120, v61
	v_add_f16_e32 v10, v12, v20
	v_mul_f16_e32 v99, 0x388b, v86
	v_mul_f16_e32 v90, 0x388b, v90
	;; [unrolled: 1-line block ×3, first 2 shown]
	v_add_f16_e32 v46, v74, v46
	v_sub_f16_e32 v72, v98, v83
	v_add_f16_e32 v35, v70, v106
	v_sub_f16_e32 v28, v107, v67
	v_add_f16_e32 v21, v65, v102
	v_add_f16_e32 v6, v7, v6
	v_and_b32_e32 v7, 0xffff, v17
	v_add_f16_e32 v4, v8, v4
	v_add_f16_e32 v8, v10, v19
	v_sub_f16_e32 v10, v100, v62
	v_sub_f16_e32 v53, v86, v109
	v_add_f16_e32 v84, v105, v90
	v_sub_f16_e32 v80, v99, v97
	v_add_f16_e32 v35, v35, v51
	v_add_f16_e32 v11, v21, v11
	;; [unrolled: 1-line block ×3, first 2 shown]
	v_mul_u32_u24_e32 v6, 0x208, v7
	v_lshlrev_b32_e32 v1, 2, v1
	v_add_f16_e32 v7, v8, v18
	v_add_f16_e32 v4, v10, v4
	;; [unrolled: 1-line block ×5, first 2 shown]
	v_add3_u32 v1, 0, v6, v1
	v_pack_b32_f16 v5, v5, v7
	v_pack_b32_f16 v4, v4, v11
	;; [unrolled: 1-line block ×4, first 2 shown]
	v_add_f16_e32 v8, v80, v47
	v_add_f16_e32 v10, v53, v48
	;; [unrolled: 1-line block ×3, first 2 shown]
	ds_store_2addr_b32 v1, v5, v4 offset1:10
	ds_store_2addr_b32 v1, v6, v7 offset0:20 offset1:30
	v_perm_b32 v7, v13, v9, 0x5040100
	v_pack_b32_f16 v4, v8, v49
	v_pack_b32_f16 v5, v10, v45
	;; [unrolled: 1-line block ×3, first 2 shown]
	v_perm_b32 v8, v43, v42, 0x5040100
	v_perm_b32 v10, v37, v41, 0x5040100
	;; [unrolled: 1-line block ×5, first 2 shown]
	ds_store_2addr_b32 v1, v4, v5 offset0:40 offset1:50
	ds_store_2addr_b32 v1, v6, v7 offset0:60 offset1:70
	;; [unrolled: 1-line block ×4, first 2 shown]
	ds_store_b32 v1, v17 offset:480
.LBB0_15:
	s_wait_alu 0xfffe
	s_or_b32 exec_lo, exec_lo, s1
	global_wb scope:SCOPE_SE
	s_wait_dscnt 0x0
	s_barrier_signal -1
	s_barrier_wait -1
	global_inv scope:SCOPE_SE
	ds_load_b32 v7, v16
	ds_load_b32 v18, v16 offset:1040
	ds_load_b32 v17, v16 offset:2080
	ds_load_b32 v11, v16 offset:3120
	ds_load_b32 v10, v16 offset:4160
	ds_load_b32 v8, v16 offset:5200
	ds_load_b32 v12, v16 offset:6240
	v_cmp_gt_u32_e64 s0, 0x4e, v0
                                        ; implicit-def: $vgpr6
                                        ; implicit-def: $vgpr1
	s_delay_alu instid0(VALU_DEP_1)
	s_and_saveexec_b32 s1, s0
	s_cbranch_execz .LBB0_17
; %bb.16:
	ds_load_b32 v9, v16 offset:728
	ds_load_b32 v14, v16 offset:3848
	;; [unrolled: 1-line block ×6, first 2 shown]
	ds_load_u16 v37, v16 offset:2810
	ds_load_b32 v41, v16 offset:2808
	s_wait_dscnt 0x7
	v_lshrrev_b32_e32 v13, 16, v9
	s_wait_dscnt 0x6
	v_lshrrev_b32_e32 v40, 16, v14
	;; [unrolled: 2-line block ×6, first 2 shown]
.LBB0_17:
	s_wait_alu 0xfffe
	s_or_b32 exec_lo, exec_lo, s1
	v_dual_mov_b32 v5, 0 :: v_dual_add_nc_u32 v4, 0xffffff7e, v0
	v_cmp_gt_u32_e64 s1, 0x82, v0
	s_wait_dscnt 0x5
	v_lshrrev_b32_e32 v26, 16, v18
	s_wait_dscnt 0x4
	v_lshrrev_b32_e32 v27, 16, v17
	;; [unrolled: 2-line block ×4, first 2 shown]
	s_wait_alu 0xf1ff
	v_cndmask_b32_e64 v25, v4, v0, s1
	v_lshrrev_b32_e32 v28, 16, v11
	v_lshrrev_b32_e32 v31, 16, v7
	s_delay_alu instid0(VALU_DEP_3) | instskip(SKIP_1) | instid1(VALU_DEP_2)
	v_mul_i32_i24_e32 v4, 6, v25
	v_lshlrev_b32_e32 v25, 2, v25
	v_lshlrev_b64_e32 v[19:20], 2, v[4:5]
	s_delay_alu instid0(VALU_DEP_1) | instskip(SKIP_1) | instid1(VALU_DEP_2)
	v_add_co_u32 v23, s1, s4, v19
	s_wait_alu 0xf1ff
	v_add_co_ci_u32_e64 v24, s1, s5, v20, s1
	v_cmp_lt_u32_e64 s1, 0x81, v0
	s_clause 0x1
	global_load_b128 v[19:22], v[23:24], off offset:480
	global_load_b64 v[23:24], v[23:24], off offset:496
	global_wb scope:SCOPE_SE
	s_wait_loadcnt 0x0
	s_wait_alu 0xf1ff
	v_cndmask_b32_e64 v4, 0, 0xe38, s1
	s_barrier_signal -1
	s_barrier_wait -1
	global_inv scope:SCOPE_SE
	v_add3_u32 v4, 0, v4, v25
	v_lshrrev_b32_e32 v25, 16, v10
	s_delay_alu instid0(VALU_DEP_2)
	v_add_nc_u32_e32 v32, 0x400, v4
	v_add_nc_u32_e32 v33, 0x800, v4
	v_lshrrev_b32_e32 v34, 16, v19
	v_lshrrev_b32_e32 v35, 16, v20
	;; [unrolled: 1-line block ×6, first 2 shown]
	v_mul_f16_e32 v48, v34, v26
	v_mul_f16_e32 v34, v34, v18
	;; [unrolled: 1-line block ×12, first 2 shown]
	v_fma_f16 v18, v19, v18, -v48
	v_fmac_f16_e32 v34, v19, v26
	v_fma_f16 v17, v20, v17, -v49
	v_fmac_f16_e32 v35, v20, v27
	;; [unrolled: 2-line block ×6, first 2 shown]
	v_add_f16_e32 v19, v18, v12
	v_add_f16_e32 v20, v34, v47
	;; [unrolled: 1-line block ×4, first 2 shown]
	v_sub_f16_e32 v12, v18, v12
	v_sub_f16_e32 v18, v34, v47
	;; [unrolled: 1-line block ×4, first 2 shown]
	v_add_f16_e32 v23, v11, v10
	v_add_f16_e32 v24, v44, v45
	v_sub_f16_e32 v10, v10, v11
	v_sub_f16_e32 v11, v45, v44
	v_add_f16_e32 v25, v21, v19
	v_add_f16_e32 v26, v22, v20
	v_sub_f16_e32 v27, v21, v19
	v_sub_f16_e32 v28, v22, v20
	v_sub_f16_e32 v19, v19, v23
	v_sub_f16_e32 v20, v20, v24
	v_sub_f16_e32 v21, v23, v21
	v_sub_f16_e32 v22, v24, v22
	v_add_f16_e32 v29, v10, v8
	v_add_f16_e32 v30, v11, v17
	v_sub_f16_e32 v34, v10, v8
	v_sub_f16_e32 v35, v11, v17
	;; [unrolled: 1-line block ×4, first 2 shown]
	v_add_f16_e32 v23, v23, v25
	v_add_f16_e32 v24, v24, v26
	v_sub_f16_e32 v10, v12, v10
	v_sub_f16_e32 v11, v18, v11
	v_add_f16_e32 v12, v29, v12
	v_add_f16_e32 v18, v30, v18
	v_mul_f16_e32 v19, 0x3a52, v19
	v_mul_f16_e32 v20, 0x3a52, v20
	v_mul_f16_e32 v25, 0x2b26, v21
	v_mul_f16_e32 v26, 0x2b26, v22
	v_mul_f16_e32 v29, 0xb846, v34
	v_mul_f16_e32 v30, 0xb846, v35
	v_mul_f16_e32 v34, 0x3b00, v8
	v_mul_f16_e32 v35, 0x3b00, v17
	v_add_f16_e32 v7, v23, v7
	v_add_f16_e32 v31, v24, v31
	v_fmamk_f16 v21, v21, 0x2b26, v19
	v_fmamk_f16 v22, v22, 0x2b26, v20
	v_fma_f16 v25, v27, 0x39e0, -v25
	v_fma_f16 v26, v28, 0x39e0, -v26
	;; [unrolled: 1-line block ×4, first 2 shown]
	v_fmamk_f16 v27, v10, 0x3574, v29
	v_fmamk_f16 v28, v11, 0x3574, v30
	v_fma_f16 v8, v8, 0x3b00, -v29
	v_fma_f16 v17, v17, 0x3b00, -v30
	;; [unrolled: 1-line block ×4, first 2 shown]
	v_fmamk_f16 v23, v23, 0xbcab, v7
	v_fmamk_f16 v24, v24, 0xbcab, v31
	v_fmac_f16_e32 v27, 0x370e, v12
	v_fmac_f16_e32 v28, 0x370e, v18
	;; [unrolled: 1-line block ×6, first 2 shown]
	v_add_f16_e32 v12, v21, v23
	v_add_f16_e32 v18, v22, v24
	;; [unrolled: 1-line block ×7, first 2 shown]
	v_sub_f16_e32 v24, v18, v27
	v_add_f16_e32 v25, v11, v19
	v_sub_f16_e32 v26, v20, v10
	v_sub_f16_e32 v29, v21, v17
	v_add_f16_e32 v30, v8, v22
	v_add_f16_e32 v17, v17, v21
	v_sub_f16_e32 v8, v22, v8
	v_sub_f16_e32 v11, v19, v11
	v_add_f16_e32 v10, v10, v20
	v_sub_f16_e32 v12, v12, v28
	v_add_f16_e32 v18, v27, v18
	v_pack_b32_f16 v7, v7, v31
	v_pack_b32_f16 v19, v23, v24
	v_pack_b32_f16 v20, v25, v26
	v_pack_b32_f16 v21, v29, v30
	v_pack_b32_f16 v8, v17, v8
	v_pack_b32_f16 v10, v11, v10
	v_pack_b32_f16 v11, v12, v18
	ds_store_2addr_b32 v4, v7, v19 offset1:130
	ds_store_2addr_b32 v32, v20, v21 offset0:4 offset1:134
	ds_store_2addr_b32 v33, v8, v10 offset0:8 offset1:138
	ds_store_b32 v4, v11 offset:3120
	s_and_saveexec_b32 s1, s0
	s_cbranch_execz .LBB0_19
; %bb.18:
	v_add_nc_u32_e32 v4, 0xb6, v0
	s_delay_alu instid0(VALU_DEP_1) | instskip(NEXT) | instid1(VALU_DEP_1)
	v_and_b32_e32 v7, 0xffff, v4
	v_mul_u32_u24_e32 v7, 0xfc1, v7
	s_delay_alu instid0(VALU_DEP_1) | instskip(NEXT) | instid1(VALU_DEP_1)
	v_lshrrev_b32_e32 v7, 19, v7
	v_mul_lo_u16 v7, 0x82, v7
	s_delay_alu instid0(VALU_DEP_1) | instskip(NEXT) | instid1(VALU_DEP_1)
	v_sub_nc_u16 v4, v4, v7
	v_and_b32_e32 v4, 0xffff, v4
	s_delay_alu instid0(VALU_DEP_1) | instskip(SKIP_1) | instid1(VALU_DEP_2)
	v_mul_u32_u24_e32 v7, 6, v4
	v_lshl_add_u32 v4, v4, 2, 0
	v_lshlrev_b32_e32 v7, 2, v7
	s_delay_alu instid0(VALU_DEP_2)
	v_add_nc_u32_e32 v10, 0xe00, v4
	v_add_nc_u32_e32 v11, 0x1200, v4
	;; [unrolled: 1-line block ×3, first 2 shown]
	s_clause 0x1
	global_load_b128 v[17:20], v7, s[4:5] offset:480
	global_load_b64 v[7:8], v7, s[4:5] offset:496
	s_wait_loadcnt 0x1
	v_lshrrev_b32_e32 v21, 16, v17
	v_lshrrev_b32_e32 v22, 16, v18
	s_wait_loadcnt 0x0
	v_lshrrev_b32_e32 v23, 16, v8
	v_lshrrev_b32_e32 v24, 16, v20
	;; [unrolled: 1-line block ×4, first 2 shown]
	v_mul_f16_e32 v27, v43, v21
	v_mul_f16_e32 v28, v6, v23
	v_mul_f16_e32 v29, v39, v24
	v_mul_f16_e32 v31, v37, v22
	v_mul_f16_e32 v32, v38, v26
	v_mul_f16_e32 v23, v1, v23
	v_mul_f16_e32 v21, v42, v21
	v_mul_f16_e32 v26, v15, v26
	v_mul_f16_e32 v22, v41, v22
	v_mul_f16_e32 v30, v40, v25
	v_mul_f16_e32 v25, v14, v25
	v_mul_f16_e32 v24, v36, v24
	v_fma_f16 v27, v42, v17, -v27
	v_fma_f16 v1, v1, v8, -v28
	;; [unrolled: 1-line block ×5, first 2 shown]
	v_fmac_f16_e32 v23, v6, v8
	v_fmac_f16_e32 v21, v43, v17
	;; [unrolled: 1-line block ×4, first 2 shown]
	v_fma_f16 v14, v14, v19, -v30
	v_fmac_f16_e32 v25, v40, v19
	v_fmac_f16_e32 v24, v39, v20
	v_sub_f16_e32 v6, v27, v1
	v_sub_f16_e32 v8, v29, v15
	v_add_f16_e32 v17, v21, v23
	v_add_f16_e32 v19, v22, v26
	;; [unrolled: 1-line block ×4, first 2 shown]
	v_sub_f16_e32 v7, v28, v14
	v_add_f16_e32 v18, v25, v24
	v_add_f16_e32 v14, v14, v28
	v_sub_f16_e32 v20, v21, v23
	v_sub_f16_e32 v21, v24, v25
	;; [unrolled: 1-line block ×3, first 2 shown]
	v_add_f16_e32 v27, v19, v17
	v_add_f16_e32 v30, v15, v1
	v_sub_f16_e32 v23, v6, v7
	v_sub_f16_e32 v24, v7, v8
	v_add_f16_e32 v7, v7, v8
	v_sub_f16_e32 v25, v17, v18
	v_sub_f16_e32 v26, v18, v19
	;; [unrolled: 1-line block ×6, first 2 shown]
	v_add_f16_e32 v21, v21, v22
	v_sub_f16_e32 v8, v8, v6
	v_add_f16_e32 v18, v18, v27
	v_add_f16_e32 v14, v14, v30
	v_sub_f16_e32 v1, v15, v1
	v_sub_f16_e32 v15, v22, v20
	;; [unrolled: 1-line block ×3, first 2 shown]
	v_mul_f16_e32 v19, 0xb846, v24
	v_add_f16_e32 v6, v7, v6
	v_mul_f16_e32 v7, 0x3a52, v25
	v_mul_f16_e32 v24, 0x3a52, v28
	;; [unrolled: 1-line block ×3, first 2 shown]
	v_add_f16_e32 v20, v21, v20
	v_mul_f16_e32 v21, 0x3b00, v8
	v_add_f16_e32 v13, v13, v18
	v_add_f16_e32 v9, v9, v14
	v_mul_f16_e32 v22, 0x2b26, v26
	v_mul_f16_e32 v25, 0x2b26, v29
	v_mul_f16_e32 v28, 0x3b00, v15
	v_fmamk_f16 v30, v23, 0x3574, v19
	v_fmamk_f16 v26, v26, 0x2b26, v7
	;; [unrolled: 1-line block ×4, first 2 shown]
	v_fma_f16 v21, v23, 0xb574, -v21
	v_fma_f16 v8, v8, 0x3b00, -v19
	v_fmamk_f16 v18, v18, 0xbcab, v13
	v_fmamk_f16 v14, v14, 0xbcab, v9
	v_fma_f16 v7, v17, 0xb9e0, -v7
	v_fma_f16 v23, v1, 0xb9e0, -v24
	;; [unrolled: 1-line block ×6, first 2 shown]
	v_fmac_f16_e32 v30, 0x370e, v6
	v_fmac_f16_e32 v32, 0x370e, v20
	;; [unrolled: 1-line block ×4, first 2 shown]
	v_pack_b32_f16 v6, v9, v13
	v_add_f16_e32 v9, v26, v18
	v_add_f16_e32 v13, v29, v14
	v_fmac_f16_e32 v24, 0x370e, v20
	v_fmac_f16_e32 v15, 0x370e, v20
	v_add_f16_e32 v7, v7, v18
	v_add_f16_e32 v19, v23, v14
	;; [unrolled: 1-line block ×5, first 2 shown]
	v_sub_f16_e32 v18, v13, v32
	v_sub_f16_e32 v9, v9, v30
	v_add_f16_e32 v13, v32, v13
	v_add_f16_e32 v20, v21, v7
	v_sub_f16_e32 v22, v17, v8
	v_add_f16_e32 v8, v8, v17
	v_sub_f16_e32 v7, v7, v21
	;; [unrolled: 2-line block ×4, first 2 shown]
	v_pack_b32_f16 v9, v13, v9
	v_pack_b32_f16 v7, v17, v7
	;; [unrolled: 1-line block ×6, first 2 shown]
	ds_store_2addr_b32 v10, v6, v9 offset0:14 offset1:144
	ds_store_2addr_b32 v11, v7, v8 offset0:18 offset1:148
	;; [unrolled: 1-line block ×3, first 2 shown]
	ds_store_b32 v4, v14 offset:6760
.LBB0_19:
	s_wait_alu 0xfffe
	s_or_b32 exec_lo, exec_lo, s1
	v_dual_mov_b32 v1, v5 :: v_dual_add_nc_u32 v24, 0x1000, v16
	global_wb scope:SCOPE_SE
	s_wait_dscnt 0x0
	s_barrier_signal -1
	s_barrier_wait -1
	v_lshlrev_b64_e32 v[4:5], 2, v[0:1]
	global_inv scope:SCOPE_SE
	v_add_nc_u32_e32 v23, 0xb00, v16
	v_add_nc_u32_e32 v25, 0x1600, v16
	;; [unrolled: 1-line block ×3, first 2 shown]
	v_add_co_u32 v6, s0, s4, v4
	s_wait_alu 0xf1ff
	v_add_co_ci_u32_e64 v7, s0, s5, v5, s0
	v_cmp_ne_u32_e64 s0, 0, v0
	s_clause 0x4
	global_load_b32 v1, v[6:7], off offset:3600
	global_load_b32 v19, v[6:7], off offset:4328
	;; [unrolled: 1-line block ×5, first 2 shown]
	ds_load_2addr_b32 v[8:9], v23 offset0:24 offset1:206
	ds_load_2addr_b32 v[10:11], v24 offset0:68 offset1:250
	;; [unrolled: 1-line block ×3, first 2 shown]
	ds_load_2addr_b32 v[14:15], v16 offset1:182
	ds_load_2addr_b32 v[17:18], v26 offset0:44 offset1:226
	global_wb scope:SCOPE_SE
	s_wait_loadcnt_dscnt 0x0
	s_barrier_signal -1
	s_barrier_wait -1
	global_inv scope:SCOPE_SE
	v_pk_mul_f16 v27, v1, v9 op_sel:[0,1]
	v_pk_mul_f16 v28, v19, v10 op_sel:[0,1]
	;; [unrolled: 1-line block ×5, first 2 shown]
	v_pk_fma_f16 v32, v1, v9, v27 op_sel:[0,0,1] op_sel_hi:[1,1,0] neg_lo:[0,0,1] neg_hi:[0,0,1]
	v_pk_fma_f16 v1, v1, v9, v27 op_sel:[0,0,1] op_sel_hi:[1,0,0]
	v_pk_fma_f16 v9, v19, v10, v28 op_sel:[0,0,1] op_sel_hi:[1,1,0] neg_lo:[0,0,1] neg_hi:[0,0,1]
	v_pk_fma_f16 v10, v19, v10, v28 op_sel:[0,0,1] op_sel_hi:[1,0,0]
	;; [unrolled: 2-line block ×5, first 2 shown]
	v_bfi_b32 v1, 0xffff, v32, v1
	v_bfi_b32 v9, 0xffff, v9, v10
	;; [unrolled: 1-line block ×5, first 2 shown]
	v_pk_add_f16 v1, v14, v1 neg_lo:[0,1] neg_hi:[0,1]
	v_pk_add_f16 v9, v15, v9 neg_lo:[0,1] neg_hi:[0,1]
	;; [unrolled: 1-line block ×5, first 2 shown]
	v_pk_fma_f16 v13, v14, 2.0, v1 op_sel_hi:[1,0,1] neg_lo:[0,0,1] neg_hi:[0,0,1]
	v_pk_fma_f16 v14, v15, 2.0, v9 op_sel_hi:[1,0,1] neg_lo:[0,0,1] neg_hi:[0,0,1]
	;; [unrolled: 1-line block ×5, first 2 shown]
	ds_store_2addr_b32 v24, v9, v10 offset0:68 offset1:250
	ds_store_2addr_b32 v25, v11, v12 offset0:48 offset1:230
	ds_store_2addr_b32 v16, v13, v14 offset1:182
	ds_store_2addr_b32 v26, v15, v17 offset0:44 offset1:226
	ds_store_2addr_b32 v23, v8, v1 offset0:24 offset1:206
	global_wb scope:SCOPE_SE
	s_wait_dscnt 0x0
	s_barrier_signal -1
	s_barrier_wait -1
	global_inv scope:SCOPE_SE
	ds_load_b32 v11, v16
	v_lshlrev_b32_e32 v1, 2, v0
                                        ; implicit-def: $vgpr10
                                        ; implicit-def: $vgpr9
                                        ; implicit-def: $vgpr8
	s_delay_alu instid0(VALU_DEP_1)
	v_sub_nc_u32_e32 v1, 0, v1
	s_and_saveexec_b32 s1, s0
	s_wait_alu 0xfffe
	s_xor_b32 s0, exec_lo, s1
	s_cbranch_execz .LBB0_21
; %bb.20:
	global_load_b32 v6, v[6:7], off offset:7240
	ds_load_b32 v7, v1 offset:7280
	s_wait_dscnt 0x0
	v_pk_add_f16 v8, v11, v7 neg_lo:[0,1] neg_hi:[0,1]
	v_pk_add_f16 v7, v7, v11
	s_delay_alu instid0(VALU_DEP_1) | instskip(SKIP_1) | instid1(VALU_DEP_2)
	v_bfi_b32 v9, 0xffff, v8, v7
	v_bfi_b32 v7, 0xffff, v7, v8
	v_pk_mul_f16 v9, v9, 0.5 op_sel_hi:[1,0]
	s_delay_alu instid0(VALU_DEP_2) | instskip(SKIP_1) | instid1(VALU_DEP_2)
	v_pk_mul_f16 v10, v7, 0.5 op_sel_hi:[1,0]
	s_wait_loadcnt 0x0
	v_pk_mul_f16 v8, v6, v9 op_sel:[1,0]
	v_pk_mul_f16 v6, v6, v9 op_sel_hi:[0,1]
	s_delay_alu instid0(VALU_DEP_3) | instskip(NEXT) | instid1(VALU_DEP_3)
	v_lshrrev_b32_e32 v9, 16, v10
	v_pk_fma_f16 v7, v7, 0.5, v8 op_sel_hi:[1,0,1]
	v_lshrrev_b32_e32 v11, 16, v8
	v_sub_f16_e32 v8, v10, v8
	v_lshrrev_b32_e32 v10, 16, v6
	s_delay_alu instid0(VALU_DEP_4) | instskip(SKIP_2) | instid1(VALU_DEP_4)
	v_pk_add_f16 v12, v7, v6 op_sel:[0,1] op_sel_hi:[1,0]
	v_pk_add_f16 v7, v7, v6 op_sel:[0,1] op_sel_hi:[1,0] neg_lo:[0,1] neg_hi:[0,1]
	v_sub_f16_e32 v11, v11, v9
	v_sub_f16_e32 v9, v8, v10
	s_delay_alu instid0(VALU_DEP_3) | instskip(NEXT) | instid1(VALU_DEP_3)
	v_bfi_b32 v10, 0xffff, v12, v7
	v_sub_f16_e32 v8, v11, v6
                                        ; implicit-def: $vgpr11
.LBB0_21:
	s_wait_alu 0xfffe
	s_and_not1_saveexec_b32 s0, s0
	s_cbranch_execz .LBB0_23
; %bb.22:
	v_mov_b32_e32 v8, 0
	s_wait_dscnt 0x0
	s_wait_alu 0xfffe
	v_alignbit_b32 v7, s0, v11, 16
	v_lshrrev_b32_e32 v9, 16, v11
	ds_load_u16 v6, v8 offset:3642
	v_pk_add_f16 v7, v7, v11
	v_sub_f16_e32 v9, v11, v9
	s_delay_alu instid0(VALU_DEP_2)
	v_pack_b32_f16 v10, v7, 0
	s_wait_dscnt 0x0
	v_xor_b32_e32 v6, 0x8000, v6
	ds_store_b16 v8, v6 offset:3642
.LBB0_23:
	s_wait_alu 0xfffe
	s_or_b32 exec_lo, exec_lo, s0
	s_add_nc_u64 s[0:1], s[4:5], 0x1c48
	s_wait_alu 0xfffe
	v_add_co_u32 v6, s0, s0, v4
	s_wait_alu 0xf1ff
	v_add_co_ci_u32_e64 v7, s0, s1, v5, s0
	s_wait_dscnt 0x0
	s_clause 0x3
	global_load_b32 v11, v[6:7], off offset:728
	global_load_b32 v12, v[6:7], off offset:1456
	;; [unrolled: 1-line block ×4, first 2 shown]
	ds_store_b16 v1, v8 offset:7282
	ds_store_b32 v16, v10
	ds_store_b16 v1, v9 offset:7280
	ds_load_b32 v7, v16 offset:728
	ds_load_b32 v8, v1 offset:6552
	s_wait_dscnt 0x0
	v_pk_add_f16 v9, v7, v8 neg_lo:[0,1] neg_hi:[0,1]
	v_pk_add_f16 v7, v7, v8
	s_delay_alu instid0(VALU_DEP_1) | instskip(SKIP_1) | instid1(VALU_DEP_2)
	v_bfi_b32 v8, 0xffff, v9, v7
	v_bfi_b32 v7, 0xffff, v7, v9
	v_pk_mul_f16 v8, v8, 0.5 op_sel_hi:[1,0]
	s_delay_alu instid0(VALU_DEP_2) | instskip(NEXT) | instid1(VALU_DEP_1)
	v_pk_mul_f16 v9, v7, 0.5 op_sel_hi:[1,0]
	v_lshrrev_b32_e32 v14, 16, v9
	s_wait_loadcnt 0x3
	s_delay_alu instid0(VALU_DEP_3) | instskip(SKIP_1) | instid1(VALU_DEP_2)
	v_pk_mul_f16 v10, v11, v8 op_sel:[1,0]
	v_pk_mul_f16 v8, v11, v8 op_sel_hi:[0,1]
	v_lshrrev_b32_e32 v11, 16, v10
	v_pk_fma_f16 v7, v7, 0.5, v10 op_sel_hi:[1,0,1]
	v_sub_f16_e32 v9, v9, v10
	s_delay_alu instid0(VALU_DEP_3) | instskip(NEXT) | instid1(VALU_DEP_3)
	v_sub_f16_e32 v11, v11, v14
	v_pk_add_f16 v10, v7, v8 op_sel:[0,1] op_sel_hi:[1,0]
	v_pk_add_f16 v7, v7, v8 op_sel:[0,1] op_sel_hi:[1,0] neg_lo:[0,1] neg_hi:[0,1]
	v_lshrrev_b32_e32 v14, 16, v8
	s_delay_alu instid0(VALU_DEP_4) | instskip(NEXT) | instid1(VALU_DEP_3)
	v_sub_f16_e32 v8, v11, v8
	v_bfi_b32 v7, 0xffff, v10, v7
	s_delay_alu instid0(VALU_DEP_3)
	v_sub_f16_e32 v9, v9, v14
	ds_store_b16 v1, v8 offset:6554
	ds_store_b32 v16, v7 offset:728
	ds_store_b16 v1, v9 offset:6552
	ds_load_b32 v7, v16 offset:1456
	ds_load_b32 v8, v1 offset:5824
	s_wait_dscnt 0x0
	v_pk_add_f16 v9, v7, v8 neg_lo:[0,1] neg_hi:[0,1]
	v_pk_add_f16 v7, v7, v8
	s_delay_alu instid0(VALU_DEP_1) | instskip(SKIP_1) | instid1(VALU_DEP_2)
	v_bfi_b32 v8, 0xffff, v9, v7
	v_bfi_b32 v7, 0xffff, v7, v9
	v_pk_mul_f16 v8, v8, 0.5 op_sel_hi:[1,0]
	s_delay_alu instid0(VALU_DEP_2) | instskip(SKIP_1) | instid1(VALU_DEP_2)
	v_pk_mul_f16 v9, v7, 0.5 op_sel_hi:[1,0]
	s_wait_loadcnt 0x2
	v_pk_mul_f16 v10, v12, v8 op_sel:[1,0]
	v_pk_mul_f16 v8, v12, v8 op_sel_hi:[0,1]
	s_delay_alu instid0(VALU_DEP_3) | instskip(NEXT) | instid1(VALU_DEP_3)
	v_lshrrev_b32_e32 v11, 16, v9
	v_lshrrev_b32_e32 v12, 16, v10
	v_pk_fma_f16 v7, v7, 0.5, v10 op_sel_hi:[1,0,1]
	v_sub_f16_e32 v9, v9, v10
	s_delay_alu instid0(VALU_DEP_3) | instskip(NEXT) | instid1(VALU_DEP_3)
	v_sub_f16_e32 v11, v12, v11
	v_pk_add_f16 v10, v7, v8 op_sel:[0,1] op_sel_hi:[1,0]
	v_pk_add_f16 v7, v7, v8 op_sel:[0,1] op_sel_hi:[1,0] neg_lo:[0,1] neg_hi:[0,1]
	v_lshrrev_b32_e32 v12, 16, v8
	s_delay_alu instid0(VALU_DEP_4) | instskip(NEXT) | instid1(VALU_DEP_3)
	v_sub_f16_e32 v8, v11, v8
	v_bfi_b32 v7, 0xffff, v10, v7
	s_delay_alu instid0(VALU_DEP_3)
	v_sub_f16_e32 v9, v9, v12
	ds_store_b16 v1, v8 offset:5826
	ds_store_b32 v16, v7 offset:1456
	ds_store_b16 v1, v9 offset:5824
	ds_load_b32 v7, v16 offset:2184
	ds_load_b32 v8, v1 offset:5096
	s_wait_dscnt 0x0
	v_pk_add_f16 v9, v7, v8 neg_lo:[0,1] neg_hi:[0,1]
	v_pk_add_f16 v7, v7, v8
	s_delay_alu instid0(VALU_DEP_1) | instskip(SKIP_1) | instid1(VALU_DEP_2)
	v_bfi_b32 v8, 0xffff, v9, v7
	v_bfi_b32 v7, 0xffff, v7, v9
	v_pk_mul_f16 v8, v8, 0.5 op_sel_hi:[1,0]
	s_delay_alu instid0(VALU_DEP_2) | instskip(SKIP_1) | instid1(VALU_DEP_2)
	v_pk_mul_f16 v7, v7, 0.5 op_sel_hi:[1,0]
	s_wait_loadcnt 0x1
	v_pk_mul_f16 v10, v13, v8 op_sel_hi:[0,1]
	s_delay_alu instid0(VALU_DEP_2) | instskip(SKIP_2) | instid1(VALU_DEP_3)
	v_pk_fma_f16 v9, v13, v8, v7 op_sel:[1,0,0]
	v_pk_fma_f16 v11, v13, v8, v7 op_sel:[1,0,0] neg_lo:[1,0,0] neg_hi:[1,0,0]
	v_pk_fma_f16 v7, v13, v8, v7 op_sel:[1,0,0] neg_lo:[0,0,1] neg_hi:[0,0,1]
	v_pk_add_f16 v8, v9, v10 op_sel:[0,1] op_sel_hi:[1,0]
	v_pk_add_f16 v9, v9, v10 op_sel:[0,1] op_sel_hi:[1,0] neg_lo:[0,1] neg_hi:[0,1]
	s_delay_alu instid0(VALU_DEP_4) | instskip(NEXT) | instid1(VALU_DEP_4)
	v_pk_add_f16 v11, v11, v10 op_sel:[0,1] op_sel_hi:[1,0] neg_lo:[0,1] neg_hi:[0,1]
	v_pk_add_f16 v7, v7, v10 op_sel:[0,1] op_sel_hi:[1,0] neg_lo:[0,1] neg_hi:[0,1]
	s_delay_alu instid0(VALU_DEP_3) | instskip(NEXT) | instid1(VALU_DEP_2)
	v_bfi_b32 v8, 0xffff, v8, v9
	v_bfi_b32 v7, 0xffff, v11, v7
	ds_store_b32 v16, v8 offset:2184
	ds_store_b32 v1, v7 offset:5096
	ds_load_b32 v7, v16 offset:2912
	ds_load_b32 v8, v1 offset:4368
	s_wait_dscnt 0x0
	v_pk_add_f16 v9, v7, v8 neg_lo:[0,1] neg_hi:[0,1]
	v_pk_add_f16 v7, v7, v8
	s_delay_alu instid0(VALU_DEP_1) | instskip(SKIP_1) | instid1(VALU_DEP_2)
	v_bfi_b32 v8, 0xffff, v9, v7
	v_bfi_b32 v7, 0xffff, v7, v9
	v_pk_mul_f16 v8, v8, 0.5 op_sel_hi:[1,0]
	s_delay_alu instid0(VALU_DEP_2) | instskip(SKIP_1) | instid1(VALU_DEP_2)
	v_pk_mul_f16 v7, v7, 0.5 op_sel_hi:[1,0]
	s_wait_loadcnt 0x0
	v_pk_mul_f16 v10, v6, v8 op_sel_hi:[0,1]
	s_delay_alu instid0(VALU_DEP_2) | instskip(SKIP_2) | instid1(VALU_DEP_3)
	v_pk_fma_f16 v9, v6, v8, v7 op_sel:[1,0,0]
	v_pk_fma_f16 v11, v6, v8, v7 op_sel:[1,0,0] neg_lo:[1,0,0] neg_hi:[1,0,0]
	v_pk_fma_f16 v6, v6, v8, v7 op_sel:[1,0,0] neg_lo:[0,0,1] neg_hi:[0,0,1]
	v_pk_add_f16 v7, v9, v10 op_sel:[0,1] op_sel_hi:[1,0]
	v_pk_add_f16 v8, v9, v10 op_sel:[0,1] op_sel_hi:[1,0] neg_lo:[0,1] neg_hi:[0,1]
	s_delay_alu instid0(VALU_DEP_4) | instskip(NEXT) | instid1(VALU_DEP_4)
	v_pk_add_f16 v9, v11, v10 op_sel:[0,1] op_sel_hi:[1,0] neg_lo:[0,1] neg_hi:[0,1]
	v_pk_add_f16 v6, v6, v10 op_sel:[0,1] op_sel_hi:[1,0] neg_lo:[0,1] neg_hi:[0,1]
	s_delay_alu instid0(VALU_DEP_3) | instskip(NEXT) | instid1(VALU_DEP_2)
	v_bfi_b32 v7, 0xffff, v7, v8
	v_bfi_b32 v6, 0xffff, v9, v6
	ds_store_b32 v16, v7 offset:2912
	ds_store_b32 v1, v6 offset:4368
	global_wb scope:SCOPE_SE
	s_wait_dscnt 0x0
	s_barrier_signal -1
	s_barrier_wait -1
	global_inv scope:SCOPE_SE
	s_and_saveexec_b32 s0, vcc_lo
	s_cbranch_execz .LBB0_26
; %bb.24:
	v_add_nc_u32_e32 v1, 0x500, v16
	v_add_nc_u32_e32 v10, 0xb00, v16
	;; [unrolled: 1-line block ×4, first 2 shown]
	ds_load_2addr_b32 v[6:7], v16 offset1:182
	ds_load_2addr_b32 v[8:9], v1 offset0:44 offset1:226
	ds_load_2addr_b32 v[10:11], v10 offset0:24 offset1:206
	;; [unrolled: 1-line block ×4, first 2 shown]
	v_add_co_u32 v1, vcc_lo, s8, v2
	s_wait_alu 0xfffd
	v_add_co_ci_u32_e32 v2, vcc_lo, s9, v3, vcc_lo
	s_delay_alu instid0(VALU_DEP_2) | instskip(SKIP_1) | instid1(VALU_DEP_2)
	v_add_co_u32 v3, vcc_lo, v1, v4
	s_wait_alu 0xfffd
	v_add_co_ci_u32_e32 v4, vcc_lo, v2, v5, vcc_lo
	v_cmp_eq_u32_e32 vcc_lo, 0xb5, v0
	s_wait_dscnt 0x4
	s_clause 0x1
	global_store_b32 v[3:4], v6, off
	global_store_b32 v[3:4], v7, off offset:728
	s_wait_dscnt 0x3
	s_clause 0x1
	global_store_b32 v[3:4], v8, off offset:1456
	global_store_b32 v[3:4], v9, off offset:2184
	s_wait_dscnt 0x2
	s_clause 0x1
	global_store_b32 v[3:4], v10, off offset:2912
	;; [unrolled: 4-line block ×4, first 2 shown]
	global_store_b32 v[3:4], v15, off offset:6552
	s_and_b32 exec_lo, exec_lo, vcc_lo
	s_cbranch_execz .LBB0_26
; %bb.25:
	v_mov_b32_e32 v0, 0
	ds_load_b32 v0, v0 offset:7280
	s_wait_dscnt 0x0
	global_store_b32 v[1:2], v0, off offset:7280
.LBB0_26:
	s_nop 0
	s_sendmsg sendmsg(MSG_DEALLOC_VGPRS)
	s_endpgm
	.section	.rodata,"a",@progbits
	.p2align	6, 0x0
	.amdhsa_kernel fft_rtc_fwd_len1820_factors_10_13_7_2_wgs_182_tpt_182_halfLds_half_ip_CI_unitstride_sbrr_R2C_dirReg
		.amdhsa_group_segment_fixed_size 0
		.amdhsa_private_segment_fixed_size 0
		.amdhsa_kernarg_size 88
		.amdhsa_user_sgpr_count 2
		.amdhsa_user_sgpr_dispatch_ptr 0
		.amdhsa_user_sgpr_queue_ptr 0
		.amdhsa_user_sgpr_kernarg_segment_ptr 1
		.amdhsa_user_sgpr_dispatch_id 0
		.amdhsa_user_sgpr_private_segment_size 0
		.amdhsa_wavefront_size32 1
		.amdhsa_uses_dynamic_stack 0
		.amdhsa_enable_private_segment 0
		.amdhsa_system_sgpr_workgroup_id_x 1
		.amdhsa_system_sgpr_workgroup_id_y 0
		.amdhsa_system_sgpr_workgroup_id_z 0
		.amdhsa_system_sgpr_workgroup_info 0
		.amdhsa_system_vgpr_workitem_id 0
		.amdhsa_next_free_vgpr 148
		.amdhsa_next_free_sgpr 32
		.amdhsa_reserve_vcc 1
		.amdhsa_float_round_mode_32 0
		.amdhsa_float_round_mode_16_64 0
		.amdhsa_float_denorm_mode_32 3
		.amdhsa_float_denorm_mode_16_64 3
		.amdhsa_fp16_overflow 0
		.amdhsa_workgroup_processor_mode 1
		.amdhsa_memory_ordered 1
		.amdhsa_forward_progress 0
		.amdhsa_round_robin_scheduling 0
		.amdhsa_exception_fp_ieee_invalid_op 0
		.amdhsa_exception_fp_denorm_src 0
		.amdhsa_exception_fp_ieee_div_zero 0
		.amdhsa_exception_fp_ieee_overflow 0
		.amdhsa_exception_fp_ieee_underflow 0
		.amdhsa_exception_fp_ieee_inexact 0
		.amdhsa_exception_int_div_zero 0
	.end_amdhsa_kernel
	.text
.Lfunc_end0:
	.size	fft_rtc_fwd_len1820_factors_10_13_7_2_wgs_182_tpt_182_halfLds_half_ip_CI_unitstride_sbrr_R2C_dirReg, .Lfunc_end0-fft_rtc_fwd_len1820_factors_10_13_7_2_wgs_182_tpt_182_halfLds_half_ip_CI_unitstride_sbrr_R2C_dirReg
                                        ; -- End function
	.section	.AMDGPU.csdata,"",@progbits
; Kernel info:
; codeLenInByte = 11368
; NumSgprs: 34
; NumVgprs: 148
; ScratchSize: 0
; MemoryBound: 0
; FloatMode: 240
; IeeeMode: 1
; LDSByteSize: 0 bytes/workgroup (compile time only)
; SGPRBlocks: 4
; VGPRBlocks: 18
; NumSGPRsForWavesPerEU: 34
; NumVGPRsForWavesPerEU: 148
; Occupancy: 9
; WaveLimiterHint : 1
; COMPUTE_PGM_RSRC2:SCRATCH_EN: 0
; COMPUTE_PGM_RSRC2:USER_SGPR: 2
; COMPUTE_PGM_RSRC2:TRAP_HANDLER: 0
; COMPUTE_PGM_RSRC2:TGID_X_EN: 1
; COMPUTE_PGM_RSRC2:TGID_Y_EN: 0
; COMPUTE_PGM_RSRC2:TGID_Z_EN: 0
; COMPUTE_PGM_RSRC2:TIDIG_COMP_CNT: 0
	.text
	.p2alignl 7, 3214868480
	.fill 96, 4, 3214868480
	.type	__hip_cuid_bf07a7c436f99569,@object ; @__hip_cuid_bf07a7c436f99569
	.section	.bss,"aw",@nobits
	.globl	__hip_cuid_bf07a7c436f99569
__hip_cuid_bf07a7c436f99569:
	.byte	0                               ; 0x0
	.size	__hip_cuid_bf07a7c436f99569, 1

	.ident	"AMD clang version 19.0.0git (https://github.com/RadeonOpenCompute/llvm-project roc-6.4.0 25133 c7fe45cf4b819c5991fe208aaa96edf142730f1d)"
	.section	".note.GNU-stack","",@progbits
	.addrsig
	.addrsig_sym __hip_cuid_bf07a7c436f99569
	.amdgpu_metadata
---
amdhsa.kernels:
  - .args:
      - .actual_access:  read_only
        .address_space:  global
        .offset:         0
        .size:           8
        .value_kind:     global_buffer
      - .offset:         8
        .size:           8
        .value_kind:     by_value
      - .actual_access:  read_only
        .address_space:  global
        .offset:         16
        .size:           8
        .value_kind:     global_buffer
      - .actual_access:  read_only
        .address_space:  global
        .offset:         24
        .size:           8
        .value_kind:     global_buffer
      - .offset:         32
        .size:           8
        .value_kind:     by_value
      - .actual_access:  read_only
        .address_space:  global
        .offset:         40
        .size:           8
        .value_kind:     global_buffer
      - .actual_access:  read_only
        .address_space:  global
        .offset:         48
        .size:           8
        .value_kind:     global_buffer
      - .offset:         56
        .size:           4
        .value_kind:     by_value
      - .actual_access:  read_only
        .address_space:  global
        .offset:         64
        .size:           8
        .value_kind:     global_buffer
      - .actual_access:  read_only
        .address_space:  global
        .offset:         72
        .size:           8
        .value_kind:     global_buffer
      - .address_space:  global
        .offset:         80
        .size:           8
        .value_kind:     global_buffer
    .group_segment_fixed_size: 0
    .kernarg_segment_align: 8
    .kernarg_segment_size: 88
    .language:       OpenCL C
    .language_version:
      - 2
      - 0
    .max_flat_workgroup_size: 182
    .name:           fft_rtc_fwd_len1820_factors_10_13_7_2_wgs_182_tpt_182_halfLds_half_ip_CI_unitstride_sbrr_R2C_dirReg
    .private_segment_fixed_size: 0
    .sgpr_count:     34
    .sgpr_spill_count: 0
    .symbol:         fft_rtc_fwd_len1820_factors_10_13_7_2_wgs_182_tpt_182_halfLds_half_ip_CI_unitstride_sbrr_R2C_dirReg.kd
    .uniform_work_group_size: 1
    .uses_dynamic_stack: false
    .vgpr_count:     148
    .vgpr_spill_count: 0
    .wavefront_size: 32
    .workgroup_processor_mode: 1
amdhsa.target:   amdgcn-amd-amdhsa--gfx1201
amdhsa.version:
  - 1
  - 2
...

	.end_amdgpu_metadata
